;; amdgpu-corpus repo=ROCm/rocm-examples kind=compiled arch=gfx906 opt=O3
	.amdgcn_target "amdgcn-amd-amdhsa--gfx906"
	.amdhsa_code_object_version 6
	.text
	.protected	_Z10computeDFTPKfP15HIP_vector_typeIfLj2EEi ; -- Begin function _Z10computeDFTPKfP15HIP_vector_typeIfLj2EEi
	.globl	_Z10computeDFTPKfP15HIP_vector_typeIfLj2EEi
	.p2align	8
	.type	_Z10computeDFTPKfP15HIP_vector_typeIfLj2EEi,@function
_Z10computeDFTPKfP15HIP_vector_typeIfLj2EEi: ; @_Z10computeDFTPKfP15HIP_vector_typeIfLj2EEi
; %bb.0:
	s_load_dword s0, s[4:5], 0x24
	s_load_dword s14, s[4:5], 0x10
	s_waitcnt lgkmcnt(0)
	s_and_b32 s0, s0, 0xffff
	s_mul_i32 s6, s6, s0
	v_add_u32_e32 v0, s6, v0
	v_cmp_gt_i32_e32 vcc, s14, v0
	s_and_saveexec_b64 s[0:1], vcc
	s_cbranch_execz .LBB0_14
; %bb.1:
	s_load_dwordx4 s[8:11], s[4:5], 0x0
	s_cmp_lt_i32 s14, 1
	s_cbranch_scc1 .LBB0_12
; %bb.2:
	v_cvt_f64_i32_e32 v[3:4], v0
	s_mov_b32 s0, 0x54442d18
	s_mov_b32 s1, 0xc01921fb
	v_cvt_f64_u32_e32 v[1:2], s14
	v_mul_f64 v[3:4], v[3:4], s[0:1]
	v_mov_b32_e32 v9, 0
	v_mov_b32_e32 v8, 0
	;; [unrolled: 1-line block ×3, first 2 shown]
	s_brev_b32 s15, 18
	s_mov_b32 s16, 0xfe5163ab
	s_mov_b32 s17, 0x3c439041
	;; [unrolled: 1-line block ×10, first 2 shown]
	v_mov_b32_e32 v11, 0xbe2aaa9d
	v_mov_b32_e32 v12, 0x3d2aabf7
	;; [unrolled: 1-line block ×3, first 2 shown]
	s_movk_i32 s26, 0x1f8
	v_not_b32_e32 v14, 63
	v_not_b32_e32 v15, 31
	v_mov_b32_e32 v16, 0x7fc00000
	v_mov_b32_e32 v5, 0
	;; [unrolled: 1-line block ×3, first 2 shown]
	s_branch .LBB0_4
.LBB0_3:                                ;   in Loop: Header=BB0_4 Depth=1
	s_or_b64 exec, exec, s[0:1]
	v_mul_f32_e32 v21, v20, v20
	v_mov_b32_e32 v22, 0x3c0881c4
	v_fmac_f32_e32 v22, 0xb94c1982, v21
	v_fma_f32 v22, v21, v22, v11
	v_mul_f32_e32 v22, v21, v22
	v_fmac_f32_e32 v20, v20, v22
	v_mov_b32_e32 v22, 0xbab64f3b
	v_fmac_f32_e32 v22, 0x37d75334, v21
	v_fma_f32 v22, v21, v22, v12
	v_fma_f32 v22, v21, v22, v13
	v_fma_f32 v21, v21, v22, 1.0
	v_and_b32_e32 v22, 1, v19
	v_cmp_eq_u32_e32 vcc, 0, v22
	v_lshlrev_b32_e32 v19, 30, v19
	v_cndmask_b32_e64 v20, -v20, v21, vcc
	v_and_b32_e32 v19, 0x80000000, v19
	v_xor_b32_e32 v19, v19, v20
	v_mul_f32_e32 v20, v23, v23
	v_mov_b32_e32 v21, 0x3c0881c4
	v_fmac_f32_e32 v21, 0xb94c1982, v20
	v_fma_f32 v21, v20, v21, v11
	v_mul_f32_e32 v21, v20, v21
	v_fmac_f32_e32 v23, v23, v21
	v_mov_b32_e32 v21, 0xbab64f3b
	v_fmac_f32_e32 v21, 0x37d75334, v20
	v_fma_f32 v21, v20, v21, v12
	v_fma_f32 v21, v20, v21, v13
	v_fma_f32 v20, v20, v21, 1.0
	v_and_b32_e32 v21, 1, v7
	v_cmp_eq_u32_e64 s[0:1], 0, v21
	v_cndmask_b32_e64 v20, v20, v23, s[0:1]
	v_lshlrev_b32_e32 v7, 30, v7
	s_waitcnt lgkmcnt(0)
	s_load_dword s0, s[8:9], 0x0
	v_add_f64 v[9:10], v[9:10], 1.0
	v_cmp_class_f32_e64 vcc, v17, s26
	v_and_b32_e32 v7, 0x80000000, v7
	v_xor_b32_e32 v17, v18, v17
	v_xor_b32_e32 v7, v17, v7
	;; [unrolled: 1-line block ×3, first 2 shown]
	v_cndmask_b32_e32 v7, v16, v7, vcc
	s_add_i32 s14, s14, -1
	v_cndmask_b32_e32 v19, v16, v19, vcc
	v_mul_f32_e32 v17, 0, v7
	s_waitcnt lgkmcnt(0)
	v_mul_f32_e32 v7, s0, v7
	s_add_u32 s8, s8, 4
	v_fma_f32 v17, v19, s0, -v17
	v_fmac_f32_e32 v7, 0, v19
	s_addc_u32 s9, s9, 0
	v_add_f32_e32 v5, v17, v5
	s_cmp_eq_u32 s14, 0
	v_add_f32_e32 v6, v7, v6
	s_cbranch_scc1 .LBB0_13
.LBB0_4:                                ; =>This Inner Loop Header: Depth=1
	v_mul_f64 v[17:18], v[3:4], v[9:10]
	v_div_scale_f64 v[19:20], s[0:1], v[1:2], v[1:2], v[17:18]
	v_rcp_f64_e32 v[21:22], v[19:20]
	v_fma_f64 v[23:24], -v[19:20], v[21:22], 1.0
	v_fma_f64 v[21:22], v[21:22], v[23:24], v[21:22]
	v_div_scale_f64 v[23:24], vcc, v[17:18], v[1:2], v[17:18]
	v_fma_f64 v[25:26], -v[19:20], v[21:22], 1.0
	v_fma_f64 v[21:22], v[21:22], v[25:26], v[21:22]
	v_mul_f64 v[25:26], v[23:24], v[21:22]
	v_fma_f64 v[19:20], -v[19:20], v[25:26], v[23:24]
	v_div_fmas_f64 v[19:20], v[19:20], v[21:22], v[25:26]
	v_div_fixup_f64 v[17:18], v[19:20], v[1:2], v[17:18]
                                        ; implicit-def: $vgpr19
                                        ; implicit-def: $vgpr20
	v_cvt_f32_f64_e32 v17, v[17:18]
	v_and_b32_e32 v18, 0x7fffffff, v17
	v_cmp_nlt_f32_e64 s[6:7], |v17|, s15
	v_lshrrev_b32_e32 v21, 23, v18
	v_and_b32_e32 v22, 0x7fffff, v18
	s_and_saveexec_b64 s[0:1], s[6:7]
	s_xor_b64 s[12:13], exec, s[0:1]
	s_cbranch_execz .LBB0_6
; %bb.5:                                ;   in Loop: Header=BB0_4 Depth=1
	v_or_b32_e32 v29, 0x800000, v22
	v_mad_u64_u32 v[19:20], s[0:1], v29, s16, 0
	v_mov_b32_e32 v7, v20
	v_mad_u64_u32 v[23:24], s[0:1], v29, s17, v[7:8]
	v_add_u32_e32 v20, 0xffffff88, v21
	v_cmp_lt_u32_e32 vcc, 63, v20
	v_mov_b32_e32 v7, v24
	v_mad_u64_u32 v[24:25], s[0:1], v29, s18, v[7:8]
	v_cndmask_b32_e32 v28, 0, v14, vcc
	v_add_u32_e32 v20, v28, v20
	v_mov_b32_e32 v7, v25
	v_mad_u64_u32 v[25:26], s[0:1], v29, s19, v[7:8]
	v_cndmask_b32_e32 v19, v24, v19, vcc
	v_mov_b32_e32 v7, v26
	v_mad_u64_u32 v[26:27], s[0:1], v29, s20, v[7:8]
	v_cmp_lt_u32_e64 s[0:1], 31, v20
	v_cndmask_b32_e64 v30, 0, v15, s[0:1]
	v_mov_b32_e32 v7, v27
	v_mad_u64_u32 v[27:28], s[2:3], v29, s21, v[7:8]
	v_add_u32_e32 v20, v30, v20
	v_cmp_lt_u32_e64 s[2:3], 31, v20
	v_mov_b32_e32 v7, v28
	v_mad_u64_u32 v[28:29], s[4:5], v29, s22, v[7:8]
	v_cndmask_b32_e64 v30, 0, v15, s[2:3]
	v_add_u32_e32 v7, v30, v20
	v_cndmask_b32_e32 v20, v26, v24, vcc
	v_cndmask_b32_e32 v30, v27, v25, vcc
	;; [unrolled: 1-line block ×4, first 2 shown]
	v_cndmask_b32_e64 v28, v26, v30, s[0:1]
	v_cndmask_b32_e64 v26, v27, v26, s[0:1]
	;; [unrolled: 1-line block ×3, first 2 shown]
	v_cndmask_b32_e32 v23, v25, v23, vcc
	v_cndmask_b32_e64 v26, v26, v28, s[2:3]
	v_cndmask_b32_e64 v28, v28, v27, s[2:3]
	v_sub_u32_e32 v29, 32, v7
	v_cndmask_b32_e64 v20, v20, v23, s[0:1]
	v_alignbit_b32 v30, v26, v28, v29
	v_cmp_eq_u32_e64 s[4:5], 0, v7
	v_cndmask_b32_e64 v25, v27, v20, s[2:3]
	v_cndmask_b32_e64 v7, v30, v26, s[4:5]
	v_alignbit_b32 v26, v28, v25, v29
	v_cndmask_b32_e64 v26, v26, v28, s[4:5]
	v_bfe_u32 v30, v7, 29, 1
	v_cndmask_b32_e64 v19, v23, v19, s[0:1]
	v_alignbit_b32 v27, v7, v26, 30
	v_sub_u32_e32 v31, 0, v30
	v_cndmask_b32_e64 v19, v20, v19, s[2:3]
	v_xor_b32_e32 v27, v27, v31
	v_alignbit_b32 v20, v25, v19, v29
	v_cndmask_b32_e64 v20, v20, v25, s[4:5]
	v_ffbh_u32_e32 v24, v27
	v_alignbit_b32 v23, v26, v20, 30
	v_min_u32_e32 v24, 32, v24
	v_alignbit_b32 v19, v20, v19, 30
	v_xor_b32_e32 v23, v23, v31
	v_sub_u32_e32 v25, 31, v24
	v_xor_b32_e32 v19, v19, v31
	v_alignbit_b32 v26, v27, v23, v25
	v_alignbit_b32 v19, v23, v19, v25
	;; [unrolled: 1-line block ×3, first 2 shown]
	v_ffbh_u32_e32 v23, v20
	v_min_u32_e32 v23, 32, v23
	v_lshrrev_b32_e32 v28, 29, v7
	v_not_b32_e32 v25, v23
	v_alignbit_b32 v19, v20, v19, v25
	v_lshlrev_b32_e32 v20, 31, v28
	v_or_b32_e32 v25, 0x33000000, v20
	v_add_lshl_u32 v23, v23, v24, 23
	v_lshrrev_b32_e32 v19, 9, v19
	v_sub_u32_e32 v23, v25, v23
	v_or_b32_e32 v20, 0.5, v20
	v_lshlrev_b32_e32 v24, 23, v24
	v_or_b32_e32 v19, v23, v19
	v_lshrrev_b32_e32 v23, 9, v26
	v_sub_u32_e32 v20, v20, v24
	v_or_b32_e32 v20, v23, v20
	v_mul_f32_e32 v23, 0x3fc90fda, v20
	v_fma_f32 v24, v20, s23, -v23
	v_fmac_f32_e32 v24, 0x33a22168, v20
	v_fmac_f32_e32 v24, 0x3fc90fda, v19
	v_lshrrev_b32_e32 v7, 30, v7
	v_add_f32_e32 v20, v23, v24
	v_add_u32_e32 v19, v30, v7
	s_or_saveexec_b64 s[0:1], s[12:13]
	v_mul_f32_e64 v24, |v17|, s24
	s_xor_b64 exec, exec, s[0:1]
	s_branch .LBB0_7
.LBB0_6:                                ;   in Loop: Header=BB0_4 Depth=1
	s_or_saveexec_b64 s[0:1], s[12:13]
	v_mul_f32_e64 v24, |v17|, s24
	s_xor_b64 exec, exec, s[0:1]
.LBB0_7:                                ;   in Loop: Header=BB0_4 Depth=1
	v_rndne_f32_e32 v7, v24
	v_cvt_i32_f32_e32 v19, v7
	v_fma_f32 v20, v7, s25, |v17|
	v_fmac_f32_e32 v20, 0xb3a22168, v7
	v_fmac_f32_e32 v20, 0xa7c234c4, v7
; %bb.8:                                ;   in Loop: Header=BB0_4 Depth=1
	s_or_b64 exec, exec, s[0:1]
                                        ; implicit-def: $vgpr7
                                        ; implicit-def: $vgpr23
	s_and_saveexec_b64 s[0:1], s[6:7]
	s_xor_b64 s[6:7], exec, s[0:1]
	s_cbranch_execz .LBB0_10
; %bb.9:                                ;   in Loop: Header=BB0_4 Depth=1
	v_or_b32_e32 v29, 0x800000, v22
	v_mad_u64_u32 v[22:23], s[0:1], v29, s16, 0
	v_add_u32_e32 v21, 0xffffff88, v21
	v_cmp_lt_u32_e32 vcc, 63, v21
	v_mov_b32_e32 v7, v23
	v_mad_u64_u32 v[23:24], s[0:1], v29, s17, v[7:8]
	v_cndmask_b32_e32 v28, 0, v14, vcc
	v_add_u32_e32 v21, v28, v21
	v_mov_b32_e32 v7, v24
	v_mad_u64_u32 v[24:25], s[0:1], v29, s18, v[7:8]
	v_mov_b32_e32 v7, v25
	v_mad_u64_u32 v[25:26], s[0:1], v29, s19, v[7:8]
	v_cndmask_b32_e32 v22, v24, v22, vcc
	v_mov_b32_e32 v7, v26
	v_mad_u64_u32 v[26:27], s[0:1], v29, s20, v[7:8]
	v_cmp_lt_u32_e64 s[0:1], 31, v21
	v_cndmask_b32_e64 v30, 0, v15, s[0:1]
	v_mov_b32_e32 v7, v27
	v_mad_u64_u32 v[27:28], s[2:3], v29, s21, v[7:8]
	v_add_u32_e32 v21, v30, v21
	v_cmp_lt_u32_e64 s[2:3], 31, v21
	v_mov_b32_e32 v7, v28
	v_mad_u64_u32 v[28:29], s[4:5], v29, s22, v[7:8]
	v_cndmask_b32_e64 v30, 0, v15, s[2:3]
	v_add_u32_e32 v7, v30, v21
	v_cndmask_b32_e32 v21, v26, v24, vcc
	v_cndmask_b32_e32 v30, v27, v25, vcc
	;; [unrolled: 1-line block ×4, first 2 shown]
	v_cndmask_b32_e64 v28, v26, v30, s[0:1]
	v_cndmask_b32_e64 v26, v27, v26, s[0:1]
	v_cndmask_b32_e64 v27, v30, v21, s[0:1]
	v_cndmask_b32_e32 v23, v25, v23, vcc
	v_cndmask_b32_e64 v26, v26, v28, s[2:3]
	v_cndmask_b32_e64 v28, v28, v27, s[2:3]
	v_sub_u32_e32 v29, 32, v7
	v_cndmask_b32_e64 v21, v21, v23, s[0:1]
	v_alignbit_b32 v30, v26, v28, v29
	v_cmp_eq_u32_e64 s[4:5], 0, v7
	v_cndmask_b32_e64 v25, v27, v21, s[2:3]
	v_cndmask_b32_e64 v7, v30, v26, s[4:5]
	v_alignbit_b32 v26, v28, v25, v29
	v_cndmask_b32_e64 v26, v26, v28, s[4:5]
	v_bfe_u32 v30, v7, 29, 1
	v_cndmask_b32_e64 v22, v23, v22, s[0:1]
	v_alignbit_b32 v27, v7, v26, 30
	v_sub_u32_e32 v31, 0, v30
	v_cndmask_b32_e64 v21, v21, v22, s[2:3]
	v_xor_b32_e32 v27, v27, v31
	v_alignbit_b32 v22, v25, v21, v29
	v_cndmask_b32_e64 v22, v22, v25, s[4:5]
	v_ffbh_u32_e32 v24, v27
	v_alignbit_b32 v23, v26, v22, 30
	v_min_u32_e32 v24, 32, v24
	v_alignbit_b32 v21, v22, v21, 30
	v_xor_b32_e32 v23, v23, v31
	v_sub_u32_e32 v25, 31, v24
	v_xor_b32_e32 v21, v21, v31
	v_alignbit_b32 v26, v27, v23, v25
	v_alignbit_b32 v21, v23, v21, v25
	;; [unrolled: 1-line block ×3, first 2 shown]
	v_ffbh_u32_e32 v23, v22
	v_min_u32_e32 v23, 32, v23
	v_lshrrev_b32_e32 v28, 29, v7
	v_not_b32_e32 v25, v23
	v_alignbit_b32 v21, v22, v21, v25
	v_lshlrev_b32_e32 v22, 31, v28
	v_or_b32_e32 v25, 0x33000000, v22
	v_add_lshl_u32 v23, v23, v24, 23
	v_lshrrev_b32_e32 v21, 9, v21
	v_sub_u32_e32 v23, v25, v23
	v_or_b32_e32 v22, 0.5, v22
	v_lshlrev_b32_e32 v24, 23, v24
	v_or_b32_e32 v21, v23, v21
	v_lshrrev_b32_e32 v23, 9, v26
	v_sub_u32_e32 v22, v22, v24
	v_or_b32_e32 v22, v23, v22
	v_mul_f32_e32 v23, 0x3fc90fda, v22
	v_fma_f32 v24, v22, s23, -v23
	v_fmac_f32_e32 v24, 0x33a22168, v22
	v_fmac_f32_e32 v24, 0x3fc90fda, v21
	v_lshrrev_b32_e32 v7, 30, v7
	v_add_f32_e32 v23, v23, v24
	v_add_u32_e32 v7, v30, v7
                                        ; implicit-def: $vgpr24
	s_andn2_saveexec_b64 s[0:1], s[6:7]
	s_cbranch_execz .LBB0_3
	s_branch .LBB0_11
.LBB0_10:                               ;   in Loop: Header=BB0_4 Depth=1
	s_andn2_saveexec_b64 s[0:1], s[6:7]
	s_cbranch_execz .LBB0_3
.LBB0_11:                               ;   in Loop: Header=BB0_4 Depth=1
	v_rndne_f32_e32 v21, v24
	v_cvt_i32_f32_e32 v7, v21
	v_fma_f32 v23, v21, s25, |v17|
	v_fmac_f32_e32 v23, 0xb3a22168, v21
	v_fmac_f32_e32 v23, 0xa7c234c4, v21
	s_branch .LBB0_3
.LBB0_12:
	v_mov_b32_e32 v5, 0
	v_mov_b32_e32 v6, 0
.LBB0_13:
	v_ashrrev_i32_e32 v1, 31, v0
	v_lshlrev_b64 v[0:1], 3, v[0:1]
	s_waitcnt lgkmcnt(0)
	v_mov_b32_e32 v2, s11
	v_add_co_u32_e32 v0, vcc, s10, v0
	v_addc_co_u32_e32 v1, vcc, v2, v1, vcc
	global_store_dwordx2 v[0:1], v[5:6], off
.LBB0_14:
	s_endpgm
	.section	.rodata,"a",@progbits
	.p2align	6, 0x0
	.amdhsa_kernel _Z10computeDFTPKfP15HIP_vector_typeIfLj2EEi
		.amdhsa_group_segment_fixed_size 0
		.amdhsa_private_segment_fixed_size 0
		.amdhsa_kernarg_size 280
		.amdhsa_user_sgpr_count 6
		.amdhsa_user_sgpr_private_segment_buffer 1
		.amdhsa_user_sgpr_dispatch_ptr 0
		.amdhsa_user_sgpr_queue_ptr 0
		.amdhsa_user_sgpr_kernarg_segment_ptr 1
		.amdhsa_user_sgpr_dispatch_id 0
		.amdhsa_user_sgpr_flat_scratch_init 0
		.amdhsa_user_sgpr_private_segment_size 0
		.amdhsa_uses_dynamic_stack 0
		.amdhsa_system_sgpr_private_segment_wavefront_offset 0
		.amdhsa_system_sgpr_workgroup_id_x 1
		.amdhsa_system_sgpr_workgroup_id_y 0
		.amdhsa_system_sgpr_workgroup_id_z 0
		.amdhsa_system_sgpr_workgroup_info 0
		.amdhsa_system_vgpr_workitem_id 0
		.amdhsa_next_free_vgpr 32
		.amdhsa_next_free_sgpr 27
		.amdhsa_reserve_vcc 1
		.amdhsa_reserve_flat_scratch 0
		.amdhsa_float_round_mode_32 0
		.amdhsa_float_round_mode_16_64 0
		.amdhsa_float_denorm_mode_32 3
		.amdhsa_float_denorm_mode_16_64 3
		.amdhsa_dx10_clamp 1
		.amdhsa_ieee_mode 1
		.amdhsa_fp16_overflow 0
		.amdhsa_exception_fp_ieee_invalid_op 0
		.amdhsa_exception_fp_denorm_src 0
		.amdhsa_exception_fp_ieee_div_zero 0
		.amdhsa_exception_fp_ieee_overflow 0
		.amdhsa_exception_fp_ieee_underflow 0
		.amdhsa_exception_fp_ieee_inexact 0
		.amdhsa_exception_int_div_zero 0
	.end_amdhsa_kernel
	.text
.Lfunc_end0:
	.size	_Z10computeDFTPKfP15HIP_vector_typeIfLj2EEi, .Lfunc_end0-_Z10computeDFTPKfP15HIP_vector_typeIfLj2EEi
                                        ; -- End function
	.set _Z10computeDFTPKfP15HIP_vector_typeIfLj2EEi.num_vgpr, 32
	.set _Z10computeDFTPKfP15HIP_vector_typeIfLj2EEi.num_agpr, 0
	.set _Z10computeDFTPKfP15HIP_vector_typeIfLj2EEi.numbered_sgpr, 27
	.set _Z10computeDFTPKfP15HIP_vector_typeIfLj2EEi.num_named_barrier, 0
	.set _Z10computeDFTPKfP15HIP_vector_typeIfLj2EEi.private_seg_size, 0
	.set _Z10computeDFTPKfP15HIP_vector_typeIfLj2EEi.uses_vcc, 1
	.set _Z10computeDFTPKfP15HIP_vector_typeIfLj2EEi.uses_flat_scratch, 0
	.set _Z10computeDFTPKfP15HIP_vector_typeIfLj2EEi.has_dyn_sized_stack, 0
	.set _Z10computeDFTPKfP15HIP_vector_typeIfLj2EEi.has_recursion, 0
	.set _Z10computeDFTPKfP15HIP_vector_typeIfLj2EEi.has_indirect_call, 0
	.section	.AMDGPU.csdata,"",@progbits
; Kernel info:
; codeLenInByte = 1908
; TotalNumSgprs: 31
; NumVgprs: 32
; ScratchSize: 0
; MemoryBound: 0
; FloatMode: 240
; IeeeMode: 1
; LDSByteSize: 0 bytes/workgroup (compile time only)
; SGPRBlocks: 3
; VGPRBlocks: 7
; NumSGPRsForWavesPerEU: 31
; NumVGPRsForWavesPerEU: 32
; Occupancy: 8
; WaveLimiterHint : 0
; COMPUTE_PGM_RSRC2:SCRATCH_EN: 0
; COMPUTE_PGM_RSRC2:USER_SGPR: 6
; COMPUTE_PGM_RSRC2:TRAP_HANDLER: 0
; COMPUTE_PGM_RSRC2:TGID_X_EN: 1
; COMPUTE_PGM_RSRC2:TGID_Y_EN: 0
; COMPUTE_PGM_RSRC2:TGID_Z_EN: 0
; COMPUTE_PGM_RSRC2:TIDIG_COMP_CNT: 0
	.section	.AMDGPU.gpr_maximums,"",@progbits
	.set amdgpu.max_num_vgpr, 0
	.set amdgpu.max_num_agpr, 0
	.set amdgpu.max_num_sgpr, 0
	.section	.AMDGPU.csdata,"",@progbits
	.type	__hip_cuid_62651b58f3c78235,@object ; @__hip_cuid_62651b58f3c78235
	.section	.bss,"aw",@nobits
	.globl	__hip_cuid_62651b58f3c78235
__hip_cuid_62651b58f3c78235:
	.byte	0                               ; 0x0
	.size	__hip_cuid_62651b58f3c78235, 1

	.ident	"AMD clang version 22.0.0git (https://github.com/RadeonOpenCompute/llvm-project roc-7.2.4 26084 f58b06dce1f9c15707c5f808fd002e18c2accf7e)"
	.section	".note.GNU-stack","",@progbits
	.addrsig
	.addrsig_sym __hip_cuid_62651b58f3c78235
	.amdgpu_metadata
---
amdhsa.kernels:
  - .args:
      - .address_space:  global
        .offset:         0
        .size:           8
        .value_kind:     global_buffer
      - .address_space:  global
        .offset:         8
        .size:           8
        .value_kind:     global_buffer
      - .offset:         16
        .size:           4
        .value_kind:     by_value
      - .offset:         24
        .size:           4
        .value_kind:     hidden_block_count_x
      - .offset:         28
        .size:           4
        .value_kind:     hidden_block_count_y
      - .offset:         32
        .size:           4
        .value_kind:     hidden_block_count_z
      - .offset:         36
        .size:           2
        .value_kind:     hidden_group_size_x
      - .offset:         38
        .size:           2
        .value_kind:     hidden_group_size_y
      - .offset:         40
        .size:           2
        .value_kind:     hidden_group_size_z
      - .offset:         42
        .size:           2
        .value_kind:     hidden_remainder_x
      - .offset:         44
        .size:           2
        .value_kind:     hidden_remainder_y
      - .offset:         46
        .size:           2
        .value_kind:     hidden_remainder_z
      - .offset:         64
        .size:           8
        .value_kind:     hidden_global_offset_x
      - .offset:         72
        .size:           8
        .value_kind:     hidden_global_offset_y
      - .offset:         80
        .size:           8
        .value_kind:     hidden_global_offset_z
      - .offset:         88
        .size:           2
        .value_kind:     hidden_grid_dims
    .group_segment_fixed_size: 0
    .kernarg_segment_align: 8
    .kernarg_segment_size: 280
    .language:       OpenCL C
    .language_version:
      - 2
      - 0
    .max_flat_workgroup_size: 1024
    .name:           _Z10computeDFTPKfP15HIP_vector_typeIfLj2EEi
    .private_segment_fixed_size: 0
    .sgpr_count:     31
    .sgpr_spill_count: 0
    .symbol:         _Z10computeDFTPKfP15HIP_vector_typeIfLj2EEi.kd
    .uniform_work_group_size: 1
    .uses_dynamic_stack: false
    .vgpr_count:     32
    .vgpr_spill_count: 0
    .wavefront_size: 64
amdhsa.target:   amdgcn-amd-amdhsa--gfx906
amdhsa.version:
  - 1
  - 2
...

	.end_amdgpu_metadata
